;; amdgpu-corpus repo=zjin-lcf/HeCBench kind=compiled arch=gfx1250 opt=O3
	.amdgcn_target "amdgcn-amd-amdhsa--gfx1250"
	.amdhsa_code_object_version 6
	.text
	.protected	_Z3sumPKfiPjPVf         ; -- Begin function _Z3sumPKfiPjPVf
	.globl	_Z3sumPKfiPjPVf
	.p2align	8
	.type	_Z3sumPKfiPjPVf,@function
_Z3sumPKfiPjPVf:                        ; @_Z3sumPKfiPjPVf
; %bb.0:
	s_load_b32 s8, s[0:1], 0x2c
	v_cmp_eq_u32_e64 s2, 0, v0
	s_and_saveexec_b32 s3, s2
; %bb.1:
	v_mov_b32_e32 v1, 0
	ds_store_b32 v1, v1
; %bb.2:
	s_or_b32 exec_lo, exec_lo, s3
	s_bfe_u32 s4, ttmp6, 0x4000c
	s_clause 0x1
	s_load_b32 s3, s[0:1], 0x20
	s_load_b32 s10, s[0:1], 0x8
	s_add_co_i32 s4, s4, 1
	s_and_b32 s5, ttmp6, 15
	s_mul_i32 s4, ttmp9, s4
	s_getreg_b32 s6, hwreg(HW_REG_IB_STS2, 6, 4)
	s_add_co_i32 s9, s5, s4
	s_cmp_eq_u32 s6, 0
	s_load_b128 s[4:7], s[0:1], 0x10
	s_cselect_b32 s9, ttmp9, s9
	s_wait_kmcnt 0x0
	s_and_b32 s8, 0xffff, s8
	s_wait_dscnt 0x0
	v_mad_u32 v1, s9, s8, v0
	s_barrier_signal -1
	s_barrier_wait -1
	s_delay_alu instid0(VALU_DEP_1)
	v_cmp_gt_u32_e32 vcc_lo, s10, v1
	s_and_saveexec_b32 s10, vcc_lo
	s_cbranch_execz .LBB0_7
; %bb.3:
	s_load_b64 s[0:1], s[0:1], 0x0
	s_mov_b32 s11, exec_lo
	s_wait_kmcnt 0x0
	global_load_b32 v1, v1, s[0:1] scale_offset
	s_wait_xcnt 0x0
	s_brev_b32 s0, 1
.LBB0_4:                                ; =>This Inner Loop Header: Depth=1
	s_ctz_i32_b32 s1, s11
	s_wait_loadcnt 0x0
	v_readlane_b32 s12, v1, s1
	s_lshl_b32 s1, 1, s1
	s_delay_alu instid0(SALU_CYCLE_1) | instskip(NEXT) | instid1(SALU_CYCLE_1)
	s_and_not1_b32 s11, s11, s1
	s_cmp_lg_u32 s11, 0
	s_add_f32 s0, s0, s12
	s_cbranch_scc1 .LBB0_4
; %bb.5:
	v_mbcnt_lo_u32_b32 v1, exec_lo, 0
	s_mov_b32 s1, exec_lo
	s_delay_alu instid0(VALU_DEP_1)
	v_cmpx_eq_u32_e32 0, v1
	s_xor_b32 s1, exec_lo, s1
; %bb.6:
	v_dual_mov_b32 v1, 0 :: v_dual_mov_b32 v2, s0
	ds_add_f32 v1, v2
.LBB0_7:
	s_or_b32 exec_lo, exec_lo, s10
	s_wait_dscnt 0x0
	s_barrier_signal -1
	s_barrier_wait -1
	s_and_saveexec_b32 s0, s2
	s_cbranch_execz .LBB0_11
; %bb.8:
	v_dual_mov_b32 v1, 0 :: v_dual_mov_b32 v4, s9
	s_mov_b32 s1, exec_lo
	s_mov_b32 s9, exec_lo
	v_mbcnt_lo_u32_b32 v2, s1, 0
	ds_load_b32 v3, v1
	s_wait_dscnt 0x0
	flat_store_b32 v4, v3, s[6:7] scale_offset scope:SCOPE_SYS
	s_wait_storecnt 0x0
	global_wb scope:SCOPE_DEV
	s_wait_storecnt_dscnt 0x0
	global_inv scope:SCOPE_DEV
                                        ; implicit-def: $vgpr3
	s_wait_xcnt 0x0
	v_cmpx_eq_u32_e32 0, v2
	s_cbranch_execz .LBB0_10
; %bb.9:
	s_bcnt1_i32_b32 s1, s1
	s_delay_alu instid0(SALU_CYCLE_1)
	v_mov_b32_e32 v3, s1
	global_atomic_add_u32 v3, v1, v3, s[4:5] th:TH_ATOMIC_RETURN scope:SCOPE_DEV
.LBB0_10:
	s_wait_xcnt 0x0
	s_or_b32 exec_lo, exec_lo, s9
	s_wait_loadcnt 0x0
	v_readfirstlane_b32 s1, v3
	s_delay_alu instid0(VALU_DEP_1)
	v_add_nc_u32_e32 v2, s1, v2
	s_add_co_i32 s1, s3, -1
	s_delay_alu instid0(VALU_DEP_1) | instid1(SALU_CYCLE_1)
	v_cmp_eq_u32_e32 vcc_lo, s1, v2
	v_cndmask_b32_e64 v2, 0, 1, vcc_lo
	ds_store_b8 v1, v2 offset:4
.LBB0_11:
	s_or_b32 exec_lo, exec_lo, s0
	v_mov_b32_e32 v1, 0
	s_wait_dscnt 0x0
	s_barrier_signal -1
	s_barrier_wait -1
	ds_load_u8 v1, v1 offset:4
	s_wait_dscnt 0x0
	v_cmp_eq_u32_e32 vcc_lo, 0, v1
	s_cbranch_vccnz .LBB0_23
; %bb.12:
	s_and_saveexec_b32 s0, s2
; %bb.13:
	v_mov_b32_e32 v1, 0
	ds_store_b32 v1, v1
; %bb.14:
	s_or_b32 exec_lo, exec_lo, s0
	s_delay_alu instid0(SALU_CYCLE_1)
	s_mov_b32 s0, exec_lo
	s_wait_dscnt 0x0
	s_barrier_signal -1
	s_barrier_wait -1
	v_cmpx_gt_u32_e64 s3, v0
	s_cbranch_execz .LBB0_21
; %bb.15:
	v_mov_b32_e32 v1, 0
	s_mov_b32 s1, 0
	s_branch .LBB0_17
.LBB0_16:                               ;   in Loop: Header=BB0_17 Depth=1
	s_or_b32 exec_lo, exec_lo, s10
	v_add_nc_u32_e32 v0, s8, v0
	s_delay_alu instid0(VALU_DEP_1) | instskip(SKIP_1) | instid1(SALU_CYCLE_1)
	v_cmp_le_u32_e32 vcc_lo, s3, v0
	s_or_b32 s1, vcc_lo, s1
	s_and_not1_b32 exec_lo, exec_lo, s1
	s_cbranch_execz .LBB0_21
.LBB0_17:                               ; =>This Loop Header: Depth=1
                                        ;     Child Loop BB0_18 Depth 2
	flat_load_b32 v2, v0, s[6:7] scale_offset scope:SCOPE_SYS
	s_wait_loadcnt 0x0
	s_mov_b32 s10, exec_lo
	s_brev_b32 s9, 1
.LBB0_18:                               ;   Parent Loop BB0_17 Depth=1
                                        ; =>  This Inner Loop Header: Depth=2
	s_ctz_i32_b32 s11, s10
	s_wait_dscnt 0x0
	v_readlane_b32 s12, v2, s11
	s_lshl_b32 s11, 1, s11
	s_delay_alu instid0(SALU_CYCLE_1) | instskip(NEXT) | instid1(SALU_CYCLE_1)
	s_and_not1_b32 s10, s10, s11
	s_cmp_lg_u32 s10, 0
	s_add_f32 s9, s9, s12
	s_cbranch_scc1 .LBB0_18
; %bb.19:                               ;   in Loop: Header=BB0_17 Depth=1
	v_mbcnt_lo_u32_b32 v2, exec_lo, 0
	s_mov_b32 s10, exec_lo
	s_wait_xcnt 0x0
	s_delay_alu instid0(VALU_DEP_1)
	v_cmpx_eq_u32_e32 0, v2
	s_xor_b32 s10, exec_lo, s10
	s_cbranch_execz .LBB0_16
; %bb.20:                               ;   in Loop: Header=BB0_17 Depth=1
	v_mov_b32_e32 v2, s9
	ds_add_f32 v1, v2
	s_branch .LBB0_16
.LBB0_21:
	s_or_b32 exec_lo, exec_lo, s0
	s_wait_dscnt 0x0
	s_barrier_signal -1
	s_barrier_wait -1
	s_and_saveexec_b32 s0, s2
	s_cbranch_execz .LBB0_23
; %bb.22:
	v_mov_b32_e32 v0, 0
	ds_load_b32 v1, v0
	s_wait_dscnt 0x0
	flat_store_b32 v0, v1, s[6:7] scope:SCOPE_SYS
	s_wait_storecnt 0x0
	global_store_b32 v0, v0, s[4:5]
.LBB0_23:
	s_endpgm
	.section	.rodata,"a",@progbits
	.p2align	6, 0x0
	.amdhsa_kernel _Z3sumPKfiPjPVf
		.amdhsa_group_segment_fixed_size 8
		.amdhsa_private_segment_fixed_size 0
		.amdhsa_kernarg_size 288
		.amdhsa_user_sgpr_count 2
		.amdhsa_user_sgpr_dispatch_ptr 0
		.amdhsa_user_sgpr_queue_ptr 0
		.amdhsa_user_sgpr_kernarg_segment_ptr 1
		.amdhsa_user_sgpr_dispatch_id 0
		.amdhsa_user_sgpr_kernarg_preload_length 0
		.amdhsa_user_sgpr_kernarg_preload_offset 0
		.amdhsa_user_sgpr_private_segment_size 0
		.amdhsa_wavefront_size32 1
		.amdhsa_uses_dynamic_stack 0
		.amdhsa_enable_private_segment 0
		.amdhsa_system_sgpr_workgroup_id_x 1
		.amdhsa_system_sgpr_workgroup_id_y 0
		.amdhsa_system_sgpr_workgroup_id_z 0
		.amdhsa_system_sgpr_workgroup_info 0
		.amdhsa_system_vgpr_workitem_id 0
		.amdhsa_next_free_vgpr 5
		.amdhsa_next_free_sgpr 13
		.amdhsa_named_barrier_count 0
		.amdhsa_reserve_vcc 1
		.amdhsa_float_round_mode_32 0
		.amdhsa_float_round_mode_16_64 0
		.amdhsa_float_denorm_mode_32 3
		.amdhsa_float_denorm_mode_16_64 3
		.amdhsa_fp16_overflow 0
		.amdhsa_memory_ordered 1
		.amdhsa_forward_progress 1
		.amdhsa_inst_pref_size 7
		.amdhsa_round_robin_scheduling 0
		.amdhsa_exception_fp_ieee_invalid_op 0
		.amdhsa_exception_fp_denorm_src 0
		.amdhsa_exception_fp_ieee_div_zero 0
		.amdhsa_exception_fp_ieee_overflow 0
		.amdhsa_exception_fp_ieee_underflow 0
		.amdhsa_exception_fp_ieee_inexact 0
		.amdhsa_exception_int_div_zero 0
	.end_amdhsa_kernel
	.text
.Lfunc_end0:
	.size	_Z3sumPKfiPjPVf, .Lfunc_end0-_Z3sumPKfiPjPVf
                                        ; -- End function
	.set _Z3sumPKfiPjPVf.num_vgpr, 5
	.set _Z3sumPKfiPjPVf.num_agpr, 0
	.set _Z3sumPKfiPjPVf.numbered_sgpr, 13
	.set _Z3sumPKfiPjPVf.num_named_barrier, 0
	.set _Z3sumPKfiPjPVf.private_seg_size, 0
	.set _Z3sumPKfiPjPVf.uses_vcc, 1
	.set _Z3sumPKfiPjPVf.uses_flat_scratch, 0
	.set _Z3sumPKfiPjPVf.has_dyn_sized_stack, 0
	.set _Z3sumPKfiPjPVf.has_recursion, 0
	.set _Z3sumPKfiPjPVf.has_indirect_call, 0
	.section	.AMDGPU.csdata,"",@progbits
; Kernel info:
; codeLenInByte = 772
; TotalNumSgprs: 15
; NumVgprs: 5
; ScratchSize: 0
; MemoryBound: 0
; FloatMode: 240
; IeeeMode: 1
; LDSByteSize: 8 bytes/workgroup (compile time only)
; SGPRBlocks: 0
; VGPRBlocks: 0
; NumSGPRsForWavesPerEU: 15
; NumVGPRsForWavesPerEU: 5
; NamedBarCnt: 0
; Occupancy: 16
; WaveLimiterHint : 0
; COMPUTE_PGM_RSRC2:SCRATCH_EN: 0
; COMPUTE_PGM_RSRC2:USER_SGPR: 2
; COMPUTE_PGM_RSRC2:TRAP_HANDLER: 0
; COMPUTE_PGM_RSRC2:TGID_X_EN: 1
; COMPUTE_PGM_RSRC2:TGID_Y_EN: 0
; COMPUTE_PGM_RSRC2:TGID_Z_EN: 0
; COMPUTE_PGM_RSRC2:TIDIG_COMP_CNT: 0
	.text
	.p2alignl 7, 3214868480
	.fill 96, 4, 3214868480
	.section	.AMDGPU.gpr_maximums,"",@progbits
	.set amdgpu.max_num_vgpr, 0
	.set amdgpu.max_num_agpr, 0
	.set amdgpu.max_num_sgpr, 0
	.text
	.type	__hip_cuid_cf896600b0f5990,@object ; @__hip_cuid_cf896600b0f5990
	.section	.bss,"aw",@nobits
	.globl	__hip_cuid_cf896600b0f5990
__hip_cuid_cf896600b0f5990:
	.byte	0                               ; 0x0
	.size	__hip_cuid_cf896600b0f5990, 1

	.ident	"AMD clang version 22.0.0git (https://github.com/RadeonOpenCompute/llvm-project roc-7.2.4 26084 f58b06dce1f9c15707c5f808fd002e18c2accf7e)"
	.section	".note.GNU-stack","",@progbits
	.addrsig
	.addrsig_sym __hip_cuid_cf896600b0f5990
	.amdgpu_metadata
---
amdhsa.kernels:
  - .args:
      - .actual_access:  read_only
        .address_space:  global
        .offset:         0
        .size:           8
        .value_kind:     global_buffer
      - .offset:         8
        .size:           4
        .value_kind:     by_value
      - .address_space:  global
        .offset:         16
        .size:           8
        .value_kind:     global_buffer
      - .address_space:  global
        .offset:         24
        .size:           8
        .value_kind:     global_buffer
      - .offset:         32
        .size:           4
        .value_kind:     hidden_block_count_x
      - .offset:         36
        .size:           4
        .value_kind:     hidden_block_count_y
      - .offset:         40
        .size:           4
        .value_kind:     hidden_block_count_z
      - .offset:         44
        .size:           2
        .value_kind:     hidden_group_size_x
      - .offset:         46
        .size:           2
        .value_kind:     hidden_group_size_y
      - .offset:         48
        .size:           2
        .value_kind:     hidden_group_size_z
      - .offset:         50
        .size:           2
        .value_kind:     hidden_remainder_x
      - .offset:         52
        .size:           2
        .value_kind:     hidden_remainder_y
      - .offset:         54
        .size:           2
        .value_kind:     hidden_remainder_z
      - .offset:         72
        .size:           8
        .value_kind:     hidden_global_offset_x
      - .offset:         80
        .size:           8
        .value_kind:     hidden_global_offset_y
      - .offset:         88
        .size:           8
        .value_kind:     hidden_global_offset_z
      - .offset:         96
        .size:           2
        .value_kind:     hidden_grid_dims
    .group_segment_fixed_size: 8
    .kernarg_segment_align: 8
    .kernarg_segment_size: 288
    .language:       OpenCL C
    .language_version:
      - 2
      - 0
    .max_flat_workgroup_size: 1024
    .name:           _Z3sumPKfiPjPVf
    .private_segment_fixed_size: 0
    .sgpr_count:     15
    .sgpr_spill_count: 0
    .symbol:         _Z3sumPKfiPjPVf.kd
    .uniform_work_group_size: 1
    .uses_dynamic_stack: false
    .vgpr_count:     5
    .vgpr_spill_count: 0
    .wavefront_size: 32
amdhsa.target:   amdgcn-amd-amdhsa--gfx1250
amdhsa.version:
  - 1
  - 2
...

	.end_amdgpu_metadata
